;; amdgpu-corpus repo=ROCm/rocFFT kind=compiled arch=gfx1201 opt=O3
	.text
	.amdgcn_target "amdgcn-amd-amdhsa--gfx1201"
	.amdhsa_code_object_version 6
	.protected	fft_rtc_fwd_len768_factors_16_3_16_wgs_48_tpt_48_halfLds_dp_op_CI_CI_unitstride_sbrr_C2R_dirReg ; -- Begin function fft_rtc_fwd_len768_factors_16_3_16_wgs_48_tpt_48_halfLds_dp_op_CI_CI_unitstride_sbrr_C2R_dirReg
	.globl	fft_rtc_fwd_len768_factors_16_3_16_wgs_48_tpt_48_halfLds_dp_op_CI_CI_unitstride_sbrr_C2R_dirReg
	.p2align	8
	.type	fft_rtc_fwd_len768_factors_16_3_16_wgs_48_tpt_48_halfLds_dp_op_CI_CI_unitstride_sbrr_C2R_dirReg,@function
fft_rtc_fwd_len768_factors_16_3_16_wgs_48_tpt_48_halfLds_dp_op_CI_CI_unitstride_sbrr_C2R_dirReg: ; @fft_rtc_fwd_len768_factors_16_3_16_wgs_48_tpt_48_halfLds_dp_op_CI_CI_unitstride_sbrr_C2R_dirReg
; %bb.0:
	s_clause 0x2
	s_load_b128 s[8:11], s[0:1], 0x0
	s_load_b128 s[4:7], s[0:1], 0x58
	;; [unrolled: 1-line block ×3, first 2 shown]
	v_mul_u32_u24_e32 v1, 0x556, v0
	v_mov_b32_e32 v3, 0
	s_delay_alu instid0(VALU_DEP_2) | instskip(NEXT) | instid1(VALU_DEP_1)
	v_lshrrev_b32_e32 v1, 16, v1
	v_add_nc_u32_e32 v5, ttmp9, v1
	v_mov_b32_e32 v1, 0
	v_mov_b32_e32 v2, 0
	;; [unrolled: 1-line block ×3, first 2 shown]
	s_wait_kmcnt 0x0
	v_cmp_lt_u64_e64 s2, s[10:11], 2
	s_delay_alu instid0(VALU_DEP_1)
	s_and_b32 vcc_lo, exec_lo, s2
	s_cbranch_vccnz .LBB0_8
; %bb.1:
	s_load_b64 s[2:3], s[0:1], 0x10
	v_mov_b32_e32 v1, 0
	v_mov_b32_e32 v2, 0
	s_add_nc_u64 s[16:17], s[14:15], 8
	s_add_nc_u64 s[18:19], s[12:13], 8
	s_mov_b64 s[20:21], 1
	s_delay_alu instid0(VALU_DEP_1)
	v_dual_mov_b32 v85, v2 :: v_dual_mov_b32 v84, v1
	s_wait_kmcnt 0x0
	s_add_nc_u64 s[22:23], s[2:3], 8
	s_mov_b32 s3, 0
.LBB0_2:                                ; =>This Inner Loop Header: Depth=1
	s_load_b64 s[24:25], s[22:23], 0x0
                                        ; implicit-def: $vgpr88_vgpr89
	s_mov_b32 s2, exec_lo
	s_wait_kmcnt 0x0
	v_or_b32_e32 v4, s25, v6
	s_delay_alu instid0(VALU_DEP_1)
	v_cmpx_ne_u64_e32 0, v[3:4]
	s_wait_alu 0xfffe
	s_xor_b32 s26, exec_lo, s2
	s_cbranch_execz .LBB0_4
; %bb.3:                                ;   in Loop: Header=BB0_2 Depth=1
	s_cvt_f32_u32 s2, s24
	s_cvt_f32_u32 s27, s25
	s_sub_nc_u64 s[30:31], 0, s[24:25]
	s_wait_alu 0xfffe
	s_delay_alu instid0(SALU_CYCLE_1) | instskip(SKIP_1) | instid1(SALU_CYCLE_2)
	s_fmamk_f32 s2, s27, 0x4f800000, s2
	s_wait_alu 0xfffe
	v_s_rcp_f32 s2, s2
	s_delay_alu instid0(TRANS32_DEP_1) | instskip(SKIP_1) | instid1(SALU_CYCLE_2)
	s_mul_f32 s2, s2, 0x5f7ffffc
	s_wait_alu 0xfffe
	s_mul_f32 s27, s2, 0x2f800000
	s_wait_alu 0xfffe
	s_delay_alu instid0(SALU_CYCLE_2) | instskip(SKIP_1) | instid1(SALU_CYCLE_2)
	s_trunc_f32 s27, s27
	s_wait_alu 0xfffe
	s_fmamk_f32 s2, s27, 0xcf800000, s2
	s_cvt_u32_f32 s29, s27
	s_wait_alu 0xfffe
	s_delay_alu instid0(SALU_CYCLE_1) | instskip(SKIP_1) | instid1(SALU_CYCLE_2)
	s_cvt_u32_f32 s28, s2
	s_wait_alu 0xfffe
	s_mul_u64 s[34:35], s[30:31], s[28:29]
	s_wait_alu 0xfffe
	s_mul_hi_u32 s37, s28, s35
	s_mul_i32 s36, s28, s35
	s_mul_hi_u32 s2, s28, s34
	s_mul_i32 s33, s29, s34
	s_wait_alu 0xfffe
	s_add_nc_u64 s[36:37], s[2:3], s[36:37]
	s_mul_hi_u32 s27, s29, s34
	s_mul_hi_u32 s38, s29, s35
	s_add_co_u32 s2, s36, s33
	s_wait_alu 0xfffe
	s_add_co_ci_u32 s2, s37, s27
	s_mul_i32 s34, s29, s35
	s_add_co_ci_u32 s35, s38, 0
	s_wait_alu 0xfffe
	s_add_nc_u64 s[34:35], s[2:3], s[34:35]
	s_wait_alu 0xfffe
	v_add_co_u32 v4, s2, s28, s34
	s_delay_alu instid0(VALU_DEP_1) | instskip(SKIP_1) | instid1(VALU_DEP_1)
	s_cmp_lg_u32 s2, 0
	s_add_co_ci_u32 s29, s29, s35
	v_readfirstlane_b32 s28, v4
	s_wait_alu 0xfffe
	s_delay_alu instid0(VALU_DEP_1)
	s_mul_u64 s[30:31], s[30:31], s[28:29]
	s_wait_alu 0xfffe
	s_mul_hi_u32 s35, s28, s31
	s_mul_i32 s34, s28, s31
	s_mul_hi_u32 s2, s28, s30
	s_mul_i32 s33, s29, s30
	s_wait_alu 0xfffe
	s_add_nc_u64 s[34:35], s[2:3], s[34:35]
	s_mul_hi_u32 s27, s29, s30
	s_mul_hi_u32 s28, s29, s31
	s_wait_alu 0xfffe
	s_add_co_u32 s2, s34, s33
	s_add_co_ci_u32 s2, s35, s27
	s_mul_i32 s30, s29, s31
	s_add_co_ci_u32 s31, s28, 0
	s_wait_alu 0xfffe
	s_add_nc_u64 s[30:31], s[2:3], s[30:31]
	s_wait_alu 0xfffe
	v_add_co_u32 v4, s2, v4, s30
	s_delay_alu instid0(VALU_DEP_1) | instskip(SKIP_1) | instid1(VALU_DEP_1)
	s_cmp_lg_u32 s2, 0
	s_add_co_ci_u32 s2, s29, s31
	v_mul_hi_u32 v13, v5, v4
	s_wait_alu 0xfffe
	v_mad_co_u64_u32 v[7:8], null, v5, s2, 0
	v_mad_co_u64_u32 v[9:10], null, v6, v4, 0
	;; [unrolled: 1-line block ×3, first 2 shown]
	s_delay_alu instid0(VALU_DEP_3) | instskip(SKIP_1) | instid1(VALU_DEP_4)
	v_add_co_u32 v4, vcc_lo, v13, v7
	s_wait_alu 0xfffd
	v_add_co_ci_u32_e32 v7, vcc_lo, 0, v8, vcc_lo
	s_delay_alu instid0(VALU_DEP_2) | instskip(SKIP_1) | instid1(VALU_DEP_2)
	v_add_co_u32 v4, vcc_lo, v4, v9
	s_wait_alu 0xfffd
	v_add_co_ci_u32_e32 v4, vcc_lo, v7, v10, vcc_lo
	s_wait_alu 0xfffd
	v_add_co_ci_u32_e32 v7, vcc_lo, 0, v12, vcc_lo
	s_delay_alu instid0(VALU_DEP_2) | instskip(SKIP_1) | instid1(VALU_DEP_2)
	v_add_co_u32 v4, vcc_lo, v4, v11
	s_wait_alu 0xfffd
	v_add_co_ci_u32_e32 v9, vcc_lo, 0, v7, vcc_lo
	s_delay_alu instid0(VALU_DEP_2) | instskip(SKIP_1) | instid1(VALU_DEP_3)
	v_mul_lo_u32 v10, s25, v4
	v_mad_co_u64_u32 v[7:8], null, s24, v4, 0
	v_mul_lo_u32 v11, s24, v9
	s_delay_alu instid0(VALU_DEP_2) | instskip(NEXT) | instid1(VALU_DEP_2)
	v_sub_co_u32 v7, vcc_lo, v5, v7
	v_add3_u32 v8, v8, v11, v10
	s_delay_alu instid0(VALU_DEP_1) | instskip(SKIP_1) | instid1(VALU_DEP_1)
	v_sub_nc_u32_e32 v10, v6, v8
	s_wait_alu 0xfffd
	v_subrev_co_ci_u32_e64 v10, s2, s25, v10, vcc_lo
	v_add_co_u32 v11, s2, v4, 2
	s_wait_alu 0xf1ff
	v_add_co_ci_u32_e64 v12, s2, 0, v9, s2
	v_sub_co_u32 v13, s2, v7, s24
	v_sub_co_ci_u32_e32 v8, vcc_lo, v6, v8, vcc_lo
	s_wait_alu 0xf1ff
	v_subrev_co_ci_u32_e64 v10, s2, 0, v10, s2
	s_delay_alu instid0(VALU_DEP_3) | instskip(NEXT) | instid1(VALU_DEP_3)
	v_cmp_le_u32_e32 vcc_lo, s24, v13
	v_cmp_eq_u32_e64 s2, s25, v8
	s_wait_alu 0xfffd
	v_cndmask_b32_e64 v13, 0, -1, vcc_lo
	v_cmp_le_u32_e32 vcc_lo, s25, v10
	s_wait_alu 0xfffd
	v_cndmask_b32_e64 v14, 0, -1, vcc_lo
	v_cmp_le_u32_e32 vcc_lo, s24, v7
	;; [unrolled: 3-line block ×3, first 2 shown]
	s_wait_alu 0xfffd
	v_cndmask_b32_e64 v15, 0, -1, vcc_lo
	v_cmp_eq_u32_e32 vcc_lo, s25, v10
	s_wait_alu 0xf1ff
	s_delay_alu instid0(VALU_DEP_2)
	v_cndmask_b32_e64 v7, v15, v7, s2
	s_wait_alu 0xfffd
	v_cndmask_b32_e32 v10, v14, v13, vcc_lo
	v_add_co_u32 v13, vcc_lo, v4, 1
	s_wait_alu 0xfffd
	v_add_co_ci_u32_e32 v14, vcc_lo, 0, v9, vcc_lo
	s_delay_alu instid0(VALU_DEP_3) | instskip(SKIP_1) | instid1(VALU_DEP_2)
	v_cmp_ne_u32_e32 vcc_lo, 0, v10
	s_wait_alu 0xfffd
	v_cndmask_b32_e32 v8, v14, v12, vcc_lo
	v_cndmask_b32_e32 v10, v13, v11, vcc_lo
	v_cmp_ne_u32_e32 vcc_lo, 0, v7
	s_wait_alu 0xfffd
	s_delay_alu instid0(VALU_DEP_2)
	v_dual_cndmask_b32 v89, v9, v8 :: v_dual_cndmask_b32 v88, v4, v10
.LBB0_4:                                ;   in Loop: Header=BB0_2 Depth=1
	s_wait_alu 0xfffe
	s_and_not1_saveexec_b32 s2, s26
	s_cbranch_execz .LBB0_6
; %bb.5:                                ;   in Loop: Header=BB0_2 Depth=1
	v_cvt_f32_u32_e32 v4, s24
	s_sub_co_i32 s26, 0, s24
	v_mov_b32_e32 v89, v3
	s_delay_alu instid0(VALU_DEP_2) | instskip(NEXT) | instid1(TRANS32_DEP_1)
	v_rcp_iflag_f32_e32 v4, v4
	v_mul_f32_e32 v4, 0x4f7ffffe, v4
	s_delay_alu instid0(VALU_DEP_1) | instskip(SKIP_1) | instid1(VALU_DEP_1)
	v_cvt_u32_f32_e32 v4, v4
	s_wait_alu 0xfffe
	v_mul_lo_u32 v7, s26, v4
	s_delay_alu instid0(VALU_DEP_1) | instskip(NEXT) | instid1(VALU_DEP_1)
	v_mul_hi_u32 v7, v4, v7
	v_add_nc_u32_e32 v4, v4, v7
	s_delay_alu instid0(VALU_DEP_1) | instskip(NEXT) | instid1(VALU_DEP_1)
	v_mul_hi_u32 v4, v5, v4
	v_mul_lo_u32 v7, v4, s24
	v_add_nc_u32_e32 v8, 1, v4
	s_delay_alu instid0(VALU_DEP_2) | instskip(NEXT) | instid1(VALU_DEP_1)
	v_sub_nc_u32_e32 v7, v5, v7
	v_subrev_nc_u32_e32 v9, s24, v7
	v_cmp_le_u32_e32 vcc_lo, s24, v7
	s_wait_alu 0xfffd
	s_delay_alu instid0(VALU_DEP_2) | instskip(NEXT) | instid1(VALU_DEP_1)
	v_dual_cndmask_b32 v7, v7, v9 :: v_dual_cndmask_b32 v4, v4, v8
	v_cmp_le_u32_e32 vcc_lo, s24, v7
	s_delay_alu instid0(VALU_DEP_2) | instskip(SKIP_1) | instid1(VALU_DEP_1)
	v_add_nc_u32_e32 v8, 1, v4
	s_wait_alu 0xfffd
	v_cndmask_b32_e32 v88, v4, v8, vcc_lo
.LBB0_6:                                ;   in Loop: Header=BB0_2 Depth=1
	s_wait_alu 0xfffe
	s_or_b32 exec_lo, exec_lo, s2
	v_mul_lo_u32 v4, v89, s24
	s_delay_alu instid0(VALU_DEP_2)
	v_mul_lo_u32 v9, v88, s25
	s_load_b64 s[26:27], s[18:19], 0x0
	v_mad_co_u64_u32 v[7:8], null, v88, s24, 0
	s_load_b64 s[24:25], s[16:17], 0x0
	s_add_nc_u64 s[20:21], s[20:21], 1
	s_add_nc_u64 s[16:17], s[16:17], 8
	s_wait_alu 0xfffe
	v_cmp_ge_u64_e64 s2, s[20:21], s[10:11]
	s_add_nc_u64 s[18:19], s[18:19], 8
	s_add_nc_u64 s[22:23], s[22:23], 8
	v_add3_u32 v4, v8, v9, v4
	v_sub_co_u32 v5, vcc_lo, v5, v7
	s_wait_alu 0xfffd
	s_delay_alu instid0(VALU_DEP_2) | instskip(SKIP_2) | instid1(VALU_DEP_1)
	v_sub_co_ci_u32_e32 v4, vcc_lo, v6, v4, vcc_lo
	s_and_b32 vcc_lo, exec_lo, s2
	s_wait_kmcnt 0x0
	v_mul_lo_u32 v6, s26, v4
	v_mul_lo_u32 v7, s27, v5
	v_mad_co_u64_u32 v[1:2], null, s26, v5, v[1:2]
	v_mul_lo_u32 v4, s24, v4
	v_mul_lo_u32 v8, s25, v5
	v_mad_co_u64_u32 v[84:85], null, s24, v5, v[84:85]
	s_delay_alu instid0(VALU_DEP_4) | instskip(NEXT) | instid1(VALU_DEP_2)
	v_add3_u32 v2, v7, v2, v6
	v_add3_u32 v85, v8, v85, v4
	s_wait_alu 0xfffe
	s_cbranch_vccnz .LBB0_9
; %bb.7:                                ;   in Loop: Header=BB0_2 Depth=1
	v_dual_mov_b32 v5, v88 :: v_dual_mov_b32 v6, v89
	s_branch .LBB0_2
.LBB0_8:
	v_dual_mov_b32 v85, v2 :: v_dual_mov_b32 v84, v1
	v_dual_mov_b32 v89, v6 :: v_dual_mov_b32 v88, v5
.LBB0_9:
	s_load_b64 s[0:1], s[0:1], 0x28
	v_mul_hi_u32 v3, 0x5555556, v0
	s_lshl_b64 s[10:11], s[10:11], 3
                                        ; implicit-def: $vgpr86
	s_wait_alu 0xfffe
	s_add_nc_u64 s[2:3], s[14:15], s[10:11]
	s_wait_kmcnt 0x0
	v_cmp_gt_u64_e32 vcc_lo, s[0:1], v[88:89]
	v_cmp_le_u64_e64 s0, s[0:1], v[88:89]
	s_delay_alu instid0(VALU_DEP_1)
	s_and_saveexec_b32 s1, s0
	s_wait_alu 0xfffe
	s_xor_b32 s0, exec_lo, s1
; %bb.10:
	v_mul_u32_u24_e32 v1, 48, v3
                                        ; implicit-def: $vgpr3
	s_delay_alu instid0(VALU_DEP_1)
	v_sub_nc_u32_e32 v86, v0, v1
                                        ; implicit-def: $vgpr0
                                        ; implicit-def: $vgpr1_vgpr2
; %bb.11:
	s_wait_alu 0xfffe
	s_or_saveexec_b32 s1, s0
	s_load_b64 s[2:3], s[2:3], 0x0
	s_xor_b32 exec_lo, exec_lo, s1
	s_cbranch_execz .LBB0_15
; %bb.12:
	s_add_nc_u64 s[10:11], s[12:13], s[10:11]
	v_lshlrev_b64_e32 v[1:2], 4, v[1:2]
	s_load_b64 s[10:11], s[10:11], 0x0
	s_wait_kmcnt 0x0
	v_mul_lo_u32 v6, s11, v88
	v_mul_lo_u32 v7, s10, v89
	v_mad_co_u64_u32 v[4:5], null, s10, v88, 0
	s_delay_alu instid0(VALU_DEP_1) | instskip(SKIP_1) | instid1(VALU_DEP_2)
	v_add3_u32 v5, v5, v7, v6
	v_mul_u32_u24_e32 v6, 48, v3
	v_lshlrev_b64_e32 v[3:4], 4, v[4:5]
	s_delay_alu instid0(VALU_DEP_2) | instskip(NEXT) | instid1(VALU_DEP_1)
	v_sub_nc_u32_e32 v86, v0, v6
	v_lshlrev_b32_e32 v66, 4, v86
	s_delay_alu instid0(VALU_DEP_3) | instskip(SKIP_1) | instid1(VALU_DEP_4)
	v_add_co_u32 v0, s0, s4, v3
	s_wait_alu 0xf1ff
	v_add_co_ci_u32_e64 v3, s0, s5, v4, s0
	s_mov_b32 s4, exec_lo
	s_delay_alu instid0(VALU_DEP_2) | instskip(SKIP_1) | instid1(VALU_DEP_2)
	v_add_co_u32 v0, s0, v0, v1
	s_wait_alu 0xf1ff
	v_add_co_ci_u32_e64 v1, s0, v3, v2, s0
	s_delay_alu instid0(VALU_DEP_2) | instskip(SKIP_1) | instid1(VALU_DEP_2)
	v_add_co_u32 v62, s0, v0, v66
	s_wait_alu 0xf1ff
	v_add_co_ci_u32_e64 v63, s0, 0, v1, s0
	s_clause 0xf
	global_load_b128 v[2:5], v[62:63], off
	global_load_b128 v[6:9], v[62:63], off offset:768
	global_load_b128 v[10:13], v[62:63], off offset:1536
	global_load_b128 v[14:17], v[62:63], off offset:2304
	global_load_b128 v[18:21], v[62:63], off offset:3072
	global_load_b128 v[22:25], v[62:63], off offset:3840
	global_load_b128 v[26:29], v[62:63], off offset:4608
	global_load_b128 v[30:33], v[62:63], off offset:5376
	global_load_b128 v[34:37], v[62:63], off offset:6144
	global_load_b128 v[38:41], v[62:63], off offset:6912
	global_load_b128 v[42:45], v[62:63], off offset:7680
	global_load_b128 v[46:49], v[62:63], off offset:8448
	global_load_b128 v[50:53], v[62:63], off offset:9216
	global_load_b128 v[54:57], v[62:63], off offset:9984
	global_load_b128 v[58:61], v[62:63], off offset:10752
	global_load_b128 v[62:65], v[62:63], off offset:11520
	v_add_nc_u32_e32 v66, 0, v66
	s_wait_loadcnt 0xf
	ds_store_b128 v66, v[2:5]
	s_wait_loadcnt 0xe
	ds_store_b128 v66, v[6:9] offset:768
	s_wait_loadcnt 0xd
	ds_store_b128 v66, v[10:13] offset:1536
	;; [unrolled: 2-line block ×15, first 2 shown]
	v_cmpx_eq_u32_e32 47, v86
	s_cbranch_execz .LBB0_14
; %bb.13:
	global_load_b128 v[0:3], v[0:1], off offset:12288
	v_mov_b32_e32 v4, 0
	v_mov_b32_e32 v86, 47
	s_wait_loadcnt 0x0
	ds_store_b128 v4, v[0:3] offset:12288
.LBB0_14:
	s_wait_alu 0xfffe
	s_or_b32 exec_lo, exec_lo, s4
.LBB0_15:
	s_delay_alu instid0(SALU_CYCLE_1)
	s_or_b32 exec_lo, exec_lo, s1
	v_lshlrev_b32_e32 v0, 4, v86
	global_wb scope:SCOPE_SE
	s_wait_dscnt 0x0
	s_wait_kmcnt 0x0
	s_barrier_signal -1
	s_barrier_wait -1
	global_inv scope:SCOPE_SE
	v_add_nc_u32_e32 v90, 0, v0
	v_sub_nc_u32_e32 v10, 0, v0
	s_mov_b32 s1, exec_lo
                                        ; implicit-def: $vgpr4_vgpr5
	ds_load_b64 v[6:7], v90
	ds_load_b64 v[8:9], v10 offset:12288
	s_wait_dscnt 0x0
	v_add_f64_e32 v[0:1], v[6:7], v[8:9]
	v_add_f64_e64 v[2:3], v[6:7], -v[8:9]
	v_cmpx_ne_u32_e32 0, v86
	s_wait_alu 0xfffe
	s_xor_b32 s1, exec_lo, s1
	s_cbranch_execz .LBB0_17
; %bb.16:
	v_mov_b32_e32 v87, 0
	v_add_f64_e32 v[13:14], v[6:7], v[8:9]
	v_add_f64_e64 v[15:16], v[6:7], -v[8:9]
	s_delay_alu instid0(VALU_DEP_3) | instskip(NEXT) | instid1(VALU_DEP_1)
	v_lshlrev_b64_e32 v[0:1], 4, v[86:87]
	v_add_co_u32 v0, s0, s8, v0
	s_wait_alu 0xf1ff
	s_delay_alu instid0(VALU_DEP_2)
	v_add_co_ci_u32_e64 v1, s0, s9, v1, s0
	global_load_b128 v[2:5], v[0:1], off offset:12032
	ds_load_b64 v[0:1], v10 offset:12296
	ds_load_b64 v[11:12], v90 offset:8
	s_wait_dscnt 0x0
	v_add_f64_e32 v[6:7], v[0:1], v[11:12]
	v_add_f64_e64 v[0:1], v[11:12], -v[0:1]
	s_wait_loadcnt 0x0
	v_fma_f64 v[8:9], v[15:16], v[4:5], v[13:14]
	v_fma_f64 v[11:12], -v[15:16], v[4:5], v[13:14]
	s_delay_alu instid0(VALU_DEP_3) | instskip(SKIP_1) | instid1(VALU_DEP_4)
	v_fma_f64 v[13:14], v[6:7], v[4:5], -v[0:1]
	v_fma_f64 v[4:5], v[6:7], v[4:5], v[0:1]
	v_fma_f64 v[0:1], -v[6:7], v[2:3], v[8:9]
	s_delay_alu instid0(VALU_DEP_4) | instskip(NEXT) | instid1(VALU_DEP_4)
	v_fma_f64 v[6:7], v[6:7], v[2:3], v[11:12]
	v_fma_f64 v[8:9], v[15:16], v[2:3], v[13:14]
	s_delay_alu instid0(VALU_DEP_4)
	v_fma_f64 v[2:3], v[15:16], v[2:3], v[4:5]
	v_dual_mov_b32 v4, v86 :: v_dual_mov_b32 v5, v87
	ds_store_b128 v10, v[6:9] offset:12288
.LBB0_17:
	s_wait_alu 0xfffe
	s_and_not1_saveexec_b32 s0, s1
	s_cbranch_execz .LBB0_19
; %bb.18:
	v_mov_b32_e32 v8, 0
	ds_load_b128 v[4:7], v8 offset:6144
	s_wait_dscnt 0x0
	v_add_f64_e32 v[11:12], v[4:5], v[4:5]
	v_mul_f64_e32 v[13:14], -2.0, v[6:7]
	v_mov_b32_e32 v4, 0
	v_mov_b32_e32 v5, 0
	ds_store_b128 v8, v[11:14] offset:6144
.LBB0_19:
	s_wait_alu 0xfffe
	s_or_b32 exec_lo, exec_lo, s0
	v_lshlrev_b64_e32 v[4:5], 4, v[4:5]
	s_add_nc_u64 s[0:1], s[8:9], 0x2f00
	s_mov_b32 s5, 0x3fe6a09e
	s_mov_b32 s10, 0xcf328d46
	;; [unrolled: 1-line block ×4, first 2 shown]
	s_wait_alu 0xfffe
	v_add_co_u32 v23, s0, s0, v4
	s_wait_alu 0xf1ff
	v_add_co_ci_u32_e64 v24, s0, s1, v5, s0
	s_mov_b32 s0, 0x667f3bcd
	s_mov_b32 s1, 0xbfe6a09e
	s_wait_alu 0xfffe
	s_mov_b32 s4, s0
	s_clause 0x1
	global_load_b128 v[4:7], v[23:24], off offset:768
	global_load_b128 v[11:14], v[23:24], off offset:1536
	ds_store_b128 v90, v[0:3]
	ds_load_b128 v[0:3], v90 offset:768
	ds_load_b128 v[15:18], v10 offset:11520
	global_load_b128 v[19:22], v[23:24], off offset:2304
	s_mov_b32 s16, s10
	s_mov_b32 s12, 0xa6aea964
	;; [unrolled: 1-line block ×5, first 2 shown]
	s_wait_dscnt 0x0
	v_add_f64_e32 v[8:9], v[0:1], v[15:16]
	v_add_f64_e32 v[25:26], v[17:18], v[2:3]
	v_add_f64_e64 v[15:16], v[0:1], -v[15:16]
	v_add_f64_e64 v[0:1], v[2:3], -v[17:18]
	s_wait_loadcnt 0x2
	s_delay_alu instid0(VALU_DEP_2) | instskip(NEXT) | instid1(VALU_DEP_2)
	v_fma_f64 v[2:3], v[15:16], v[6:7], v[8:9]
	v_fma_f64 v[17:18], v[25:26], v[6:7], v[0:1]
	v_fma_f64 v[8:9], -v[15:16], v[6:7], v[8:9]
	v_fma_f64 v[27:28], v[25:26], v[6:7], -v[0:1]
	s_delay_alu instid0(VALU_DEP_4) | instskip(NEXT) | instid1(VALU_DEP_4)
	v_fma_f64 v[0:1], -v[25:26], v[4:5], v[2:3]
	v_fma_f64 v[2:3], v[15:16], v[4:5], v[17:18]
	s_delay_alu instid0(VALU_DEP_4) | instskip(NEXT) | instid1(VALU_DEP_4)
	v_fma_f64 v[6:7], v[25:26], v[4:5], v[8:9]
	v_fma_f64 v[8:9], v[15:16], v[4:5], v[27:28]
	ds_store_b128 v90, v[0:3] offset:768
	ds_store_b128 v10, v[6:9] offset:11520
	ds_load_b128 v[0:3], v90 offset:1536
	ds_load_b128 v[4:7], v10 offset:10752
	global_load_b128 v[15:18], v[23:24], off offset:3072
	s_wait_dscnt 0x0
	v_add_f64_e32 v[8:9], v[0:1], v[4:5]
	v_add_f64_e32 v[25:26], v[6:7], v[2:3]
	v_add_f64_e64 v[27:28], v[0:1], -v[4:5]
	v_add_f64_e64 v[0:1], v[2:3], -v[6:7]
	s_wait_loadcnt 0x2
	s_delay_alu instid0(VALU_DEP_2) | instskip(NEXT) | instid1(VALU_DEP_2)
	v_fma_f64 v[2:3], v[27:28], v[13:14], v[8:9]
	v_fma_f64 v[4:5], v[25:26], v[13:14], v[0:1]
	v_fma_f64 v[6:7], -v[27:28], v[13:14], v[8:9]
	v_fma_f64 v[8:9], v[25:26], v[13:14], -v[0:1]
	s_delay_alu instid0(VALU_DEP_4) | instskip(NEXT) | instid1(VALU_DEP_4)
	v_fma_f64 v[0:1], -v[25:26], v[11:12], v[2:3]
	v_fma_f64 v[2:3], v[27:28], v[11:12], v[4:5]
	s_delay_alu instid0(VALU_DEP_4) | instskip(NEXT) | instid1(VALU_DEP_4)
	v_fma_f64 v[4:5], v[25:26], v[11:12], v[6:7]
	v_fma_f64 v[6:7], v[27:28], v[11:12], v[8:9]
	ds_store_b128 v90, v[0:3] offset:1536
	ds_store_b128 v10, v[4:7] offset:10752
	ds_load_b128 v[0:3], v90 offset:2304
	ds_load_b128 v[4:7], v10 offset:9984
	global_load_b128 v[11:14], v[23:24], off offset:3840
	s_wait_dscnt 0x0
	v_add_f64_e32 v[8:9], v[0:1], v[4:5]
	v_add_f64_e32 v[25:26], v[6:7], v[2:3]
	v_add_f64_e64 v[27:28], v[0:1], -v[4:5]
	v_add_f64_e64 v[0:1], v[2:3], -v[6:7]
	s_wait_loadcnt 0x2
	s_delay_alu instid0(VALU_DEP_2) | instskip(NEXT) | instid1(VALU_DEP_2)
	v_fma_f64 v[2:3], v[27:28], v[21:22], v[8:9]
	v_fma_f64 v[4:5], v[25:26], v[21:22], v[0:1]
	v_fma_f64 v[6:7], -v[27:28], v[21:22], v[8:9]
	v_fma_f64 v[8:9], v[25:26], v[21:22], -v[0:1]
	s_delay_alu instid0(VALU_DEP_4) | instskip(NEXT) | instid1(VALU_DEP_4)
	v_fma_f64 v[0:1], -v[25:26], v[19:20], v[2:3]
	v_fma_f64 v[2:3], v[27:28], v[19:20], v[4:5]
	s_delay_alu instid0(VALU_DEP_4) | instskip(NEXT) | instid1(VALU_DEP_4)
	v_fma_f64 v[4:5], v[25:26], v[19:20], v[6:7]
	v_fma_f64 v[6:7], v[27:28], v[19:20], v[8:9]
	ds_store_b128 v90, v[0:3] offset:2304
	ds_store_b128 v10, v[4:7] offset:9984
	ds_load_b128 v[0:3], v90 offset:3072
	ds_load_b128 v[4:7], v10 offset:9216
	global_load_b128 v[19:22], v[23:24], off offset:4608
	s_wait_dscnt 0x0
	v_add_f64_e32 v[8:9], v[0:1], v[4:5]
	v_add_f64_e32 v[25:26], v[6:7], v[2:3]
	v_add_f64_e64 v[27:28], v[0:1], -v[4:5]
	v_add_f64_e64 v[0:1], v[2:3], -v[6:7]
	s_wait_loadcnt 0x2
	s_delay_alu instid0(VALU_DEP_2) | instskip(NEXT) | instid1(VALU_DEP_2)
	v_fma_f64 v[2:3], v[27:28], v[17:18], v[8:9]
	v_fma_f64 v[4:5], v[25:26], v[17:18], v[0:1]
	v_fma_f64 v[6:7], -v[27:28], v[17:18], v[8:9]
	v_fma_f64 v[8:9], v[25:26], v[17:18], -v[0:1]
	s_delay_alu instid0(VALU_DEP_4) | instskip(NEXT) | instid1(VALU_DEP_4)
	v_fma_f64 v[0:1], -v[25:26], v[15:16], v[2:3]
	v_fma_f64 v[2:3], v[27:28], v[15:16], v[4:5]
	s_delay_alu instid0(VALU_DEP_4) | instskip(NEXT) | instid1(VALU_DEP_4)
	v_fma_f64 v[4:5], v[25:26], v[15:16], v[6:7]
	v_fma_f64 v[6:7], v[27:28], v[15:16], v[8:9]
	ds_store_b128 v90, v[0:3] offset:3072
	ds_store_b128 v10, v[4:7] offset:9216
	ds_load_b128 v[0:3], v90 offset:3840
	ds_load_b128 v[4:7], v10 offset:8448
	global_load_b128 v[15:18], v[23:24], off offset:5376
	s_wait_dscnt 0x0
	v_add_f64_e32 v[8:9], v[0:1], v[4:5]
	v_add_f64_e32 v[23:24], v[6:7], v[2:3]
	v_add_f64_e64 v[25:26], v[0:1], -v[4:5]
	v_add_f64_e64 v[0:1], v[2:3], -v[6:7]
	s_wait_loadcnt 0x2
	s_delay_alu instid0(VALU_DEP_2) | instskip(NEXT) | instid1(VALU_DEP_2)
	v_fma_f64 v[2:3], v[25:26], v[13:14], v[8:9]
	v_fma_f64 v[4:5], v[23:24], v[13:14], v[0:1]
	v_fma_f64 v[6:7], -v[25:26], v[13:14], v[8:9]
	v_fma_f64 v[8:9], v[23:24], v[13:14], -v[0:1]
	s_delay_alu instid0(VALU_DEP_4) | instskip(NEXT) | instid1(VALU_DEP_4)
	v_fma_f64 v[0:1], -v[23:24], v[11:12], v[2:3]
	v_fma_f64 v[2:3], v[25:26], v[11:12], v[4:5]
	s_delay_alu instid0(VALU_DEP_4) | instskip(NEXT) | instid1(VALU_DEP_4)
	v_fma_f64 v[4:5], v[23:24], v[11:12], v[6:7]
	v_fma_f64 v[6:7], v[25:26], v[11:12], v[8:9]
	ds_store_b128 v90, v[0:3] offset:3840
	ds_store_b128 v10, v[4:7] offset:8448
	ds_load_b128 v[0:3], v90 offset:4608
	ds_load_b128 v[4:7], v10 offset:7680
	s_wait_dscnt 0x0
	v_add_f64_e32 v[8:9], v[0:1], v[4:5]
	v_add_f64_e32 v[11:12], v[6:7], v[2:3]
	v_add_f64_e64 v[13:14], v[0:1], -v[4:5]
	v_add_f64_e64 v[0:1], v[2:3], -v[6:7]
	s_wait_loadcnt 0x1
	s_delay_alu instid0(VALU_DEP_2) | instskip(NEXT) | instid1(VALU_DEP_2)
	v_fma_f64 v[2:3], v[13:14], v[21:22], v[8:9]
	v_fma_f64 v[4:5], v[11:12], v[21:22], v[0:1]
	v_fma_f64 v[6:7], -v[13:14], v[21:22], v[8:9]
	v_fma_f64 v[8:9], v[11:12], v[21:22], -v[0:1]
	s_delay_alu instid0(VALU_DEP_4) | instskip(NEXT) | instid1(VALU_DEP_4)
	v_fma_f64 v[0:1], -v[11:12], v[19:20], v[2:3]
	v_fma_f64 v[2:3], v[13:14], v[19:20], v[4:5]
	s_delay_alu instid0(VALU_DEP_4) | instskip(NEXT) | instid1(VALU_DEP_4)
	v_fma_f64 v[4:5], v[11:12], v[19:20], v[6:7]
	v_fma_f64 v[6:7], v[13:14], v[19:20], v[8:9]
	ds_store_b128 v90, v[0:3] offset:4608
	ds_store_b128 v10, v[4:7] offset:7680
	ds_load_b128 v[0:3], v90 offset:5376
	ds_load_b128 v[4:7], v10 offset:6912
	s_wait_dscnt 0x0
	v_add_f64_e32 v[8:9], v[0:1], v[4:5]
	v_add_f64_e32 v[11:12], v[6:7], v[2:3]
	v_add_f64_e64 v[13:14], v[0:1], -v[4:5]
	v_add_f64_e64 v[0:1], v[2:3], -v[6:7]
	s_wait_loadcnt 0x0
	s_delay_alu instid0(VALU_DEP_2) | instskip(NEXT) | instid1(VALU_DEP_2)
	v_fma_f64 v[2:3], v[13:14], v[17:18], v[8:9]
	v_fma_f64 v[4:5], v[11:12], v[17:18], v[0:1]
	v_fma_f64 v[6:7], -v[13:14], v[17:18], v[8:9]
	v_fma_f64 v[8:9], v[11:12], v[17:18], -v[0:1]
	s_delay_alu instid0(VALU_DEP_4) | instskip(NEXT) | instid1(VALU_DEP_4)
	v_fma_f64 v[0:1], -v[11:12], v[15:16], v[2:3]
	v_fma_f64 v[2:3], v[13:14], v[15:16], v[4:5]
	s_delay_alu instid0(VALU_DEP_4) | instskip(NEXT) | instid1(VALU_DEP_4)
	v_fma_f64 v[4:5], v[11:12], v[15:16], v[6:7]
	v_fma_f64 v[6:7], v[13:14], v[15:16], v[8:9]
	ds_store_b128 v90, v[0:3] offset:5376
	ds_store_b128 v10, v[4:7] offset:6912
	global_wb scope:SCOPE_SE
	s_wait_dscnt 0x0
	s_barrier_signal -1
	s_barrier_wait -1
	global_inv scope:SCOPE_SE
	global_wb scope:SCOPE_SE
	s_barrier_signal -1
	s_barrier_wait -1
	global_inv scope:SCOPE_SE
	ds_load_b128 v[0:3], v90 offset:6144
	ds_load_b128 v[4:7], v90
	ds_load_b128 v[8:11], v90 offset:3072
	ds_load_b128 v[12:15], v90 offset:9216
	;; [unrolled: 1-line block ×14, first 2 shown]
	global_wb scope:SCOPE_SE
	s_wait_dscnt 0x0
	s_barrier_signal -1
	s_barrier_wait -1
	global_inv scope:SCOPE_SE
	v_add_f64_e64 v[0:1], v[4:5], -v[0:1]
	v_add_f64_e64 v[2:3], v[6:7], -v[2:3]
	;; [unrolled: 1-line block ×16, first 2 shown]
	v_fma_f64 v[4:5], v[4:5], 2.0, -v[0:1]
	v_fma_f64 v[6:7], v[6:7], 2.0, -v[2:3]
	v_add_f64_e32 v[66:67], v[2:3], v[12:13]
	v_add_f64_e64 v[64:65], v[0:1], -v[14:15]
	v_fma_f64 v[8:9], v[8:9], 2.0, -v[12:13]
	v_fma_f64 v[10:11], v[10:11], 2.0, -v[14:15]
	v_add_f64_e32 v[70:71], v[22:23], v[28:29]
	v_add_f64_e64 v[68:69], v[20:21], -v[30:31]
	;; [unrolled: 4-line block ×3, first 2 shown]
	v_fma_f64 v[16:17], v[24:25], 2.0, -v[28:29]
	v_fma_f64 v[18:19], v[26:27], 2.0, -v[30:31]
	v_add_f64_e64 v[76:77], v[52:53], -v[62:63]
	v_add_f64_e32 v[78:79], v[54:55], v[60:61]
	v_fma_f64 v[24:25], v[32:33], 2.0, -v[36:37]
	v_fma_f64 v[26:27], v[34:35], 2.0, -v[38:39]
	;; [unrolled: 1-line block ×10, first 2 shown]
	v_add_f64_e64 v[8:9], v[4:5], -v[8:9]
	v_add_f64_e64 v[10:11], v[6:7], -v[10:11]
	v_fma_f64 v[22:23], v[22:23], 2.0, -v[70:71]
	v_fma_f64 v[20:21], v[20:21], 2.0, -v[68:69]
	s_wait_alu 0xfffe
	v_fma_f64 v[48:49], v[68:69], s[4:5], v[64:65]
	v_fma_f64 v[50:51], v[70:71], s[4:5], v[66:67]
	v_fma_f64 v[38:39], v[38:39], 2.0, -v[74:75]
	v_fma_f64 v[36:37], v[36:37], 2.0, -v[72:73]
	v_add_f64_e64 v[16:17], v[12:13], -v[16:17]
	v_add_f64_e64 v[18:19], v[14:15], -v[18:19]
	v_fma_f64 v[44:45], v[52:53], 2.0, -v[76:77]
	v_fma_f64 v[46:47], v[54:55], 2.0, -v[78:79]
	v_fma_f64 v[52:53], v[76:77], s[4:5], v[72:73]
	v_fma_f64 v[54:55], v[78:79], s[4:5], v[74:75]
	v_add_f64_e64 v[28:29], v[24:25], -v[28:29]
	v_add_f64_e64 v[30:31], v[26:27], -v[30:31]
	;; [unrolled: 1-line block ×4, first 2 shown]
	v_fma_f64 v[4:5], v[4:5], 2.0, -v[8:9]
	v_fma_f64 v[6:7], v[6:7], 2.0, -v[10:11]
	v_fma_f64 v[58:59], v[22:23], s[0:1], v[2:3]
	v_fma_f64 v[56:57], v[20:21], s[0:1], v[0:1]
	;; [unrolled: 1-line block ×4, first 2 shown]
	v_fma_f64 v[12:13], v[12:13], 2.0, -v[16:17]
	v_fma_f64 v[14:15], v[14:15], 2.0, -v[18:19]
	v_fma_f64 v[60:61], v[44:45], s[0:1], v[36:37]
	v_fma_f64 v[62:63], v[46:47], s[0:1], v[38:39]
	v_add_f64_e64 v[80:81], v[8:9], -v[18:19]
	v_add_f64_e32 v[82:83], v[10:11], v[16:17]
	v_fma_f64 v[52:53], v[78:79], s[0:1], v[52:53]
	v_fma_f64 v[54:55], v[76:77], s[4:5], v[54:55]
	v_fma_f64 v[24:25], v[24:25], 2.0, -v[28:29]
	v_fma_f64 v[26:27], v[26:27], 2.0, -v[30:31]
	v_add_f64_e64 v[16:17], v[28:29], -v[40:41]
	v_add_f64_e32 v[18:19], v[30:31], v[42:43]
	v_fma_f64 v[32:33], v[32:33], 2.0, -v[42:43]
	v_fma_f64 v[34:35], v[34:35], 2.0, -v[40:41]
	v_fma_f64 v[58:59], v[20:21], s[4:5], v[58:59]
	v_fma_f64 v[56:57], v[22:23], s[0:1], v[56:57]
	v_add_f64_e64 v[42:43], v[4:5], -v[12:13]
	v_fma_f64 v[40:41], v[46:47], s[0:1], v[60:61]
	v_fma_f64 v[21:22], v[44:45], s[4:5], v[62:63]
	v_add_f64_e64 v[44:45], v[6:7], -v[14:15]
	v_fma_f64 v[46:47], v[8:9], 2.0, -v[80:81]
	v_fma_f64 v[60:61], v[10:11], 2.0, -v[82:83]
	;; [unrolled: 1-line block ×8, first 2 shown]
	v_add_f64_e64 v[11:12], v[24:25], -v[32:33]
	v_add_f64_e64 v[9:10], v[26:27], -v[34:35]
	v_fma_f64 v[70:71], v[2:3], 2.0, -v[58:59]
	v_fma_f64 v[68:69], v[0:1], 2.0, -v[56:57]
	v_fma_f64 v[0:1], v[16:17], s[4:5], v[80:81]
	v_fma_f64 v[2:3], v[18:19], s[4:5], v[82:83]
	v_fma_f64 v[72:73], v[4:5], 2.0, -v[42:43]
	v_mad_u32_u24 v4, 0xf0, v86, v90
	v_fma_f64 v[32:33], v[36:37], 2.0, -v[40:41]
	v_fma_f64 v[34:35], v[38:39], 2.0, -v[21:22]
	v_fma_f64 v[36:37], v[52:53], s[16:17], v[48:49]
	v_fma_f64 v[38:39], v[54:55], s[16:17], v[50:51]
	;; [unrolled: 1-line block ×4, first 2 shown]
	v_fma_f64 v[74:75], v[6:7], 2.0, -v[44:45]
	v_fma_f64 v[93:94], v[66:67], s[12:13], v[64:65]
	v_fma_f64 v[76:77], v[28:29], s[0:1], v[46:47]
	;; [unrolled: 1-line block ×4, first 2 shown]
	v_fma_f64 v[99:100], v[24:25], 2.0, -v[11:12]
	v_fma_f64 v[101:102], v[26:27], 2.0, -v[9:10]
	v_add_f64_e64 v[9:10], v[42:43], -v[9:10]
	v_add_f64_e32 v[11:12], v[44:45], v[11:12]
	v_fma_f64 v[5:6], v[18:19], s[0:1], v[0:1]
	v_fma_f64 v[7:8], v[16:17], s[4:5], v[2:3]
	;; [unrolled: 1-line block ×12, first 2 shown]
	v_add_f64_e64 v[25:26], v[72:73], -v[99:100]
	v_add_f64_e64 v[27:28], v[74:75], -v[101:102]
	v_fma_f64 v[41:42], v[42:43], 2.0, -v[9:10]
	v_fma_f64 v[43:44], v[44:45], 2.0, -v[11:12]
	v_cmp_gt_u32_e64 s0, 16, v86
	v_fma_f64 v[29:30], v[34:35], s[12:13], v[103:104]
	v_fma_f64 v[31:32], v[32:33], s[14:15], v[105:106]
	v_fma_f64 v[33:34], v[80:81], 2.0, -v[5:6]
	v_fma_f64 v[35:36], v[82:83], 2.0, -v[7:8]
	v_fma_f64 v[37:38], v[48:49], 2.0, -v[0:1]
	v_fma_f64 v[39:40], v[50:51], 2.0, -v[2:3]
	v_fma_f64 v[53:54], v[56:57], 2.0, -v[21:22]
	v_fma_f64 v[51:52], v[64:65], 2.0, -v[19:20]
	v_fma_f64 v[45:46], v[46:47], 2.0, -v[13:14]
	v_fma_f64 v[47:48], v[60:61], 2.0, -v[15:16]
	v_fma_f64 v[49:50], v[62:63], 2.0, -v[17:18]
	v_fma_f64 v[55:56], v[58:59], 2.0, -v[23:24]
	v_fma_f64 v[57:58], v[72:73], 2.0, -v[25:26]
	v_fma_f64 v[59:60], v[74:75], 2.0, -v[27:28]
	v_fma_f64 v[61:62], v[68:69], 2.0, -v[29:30]
	v_fma_f64 v[63:64], v[70:71], 2.0, -v[31:32]
	ds_store_b128 v4, v[5:8] offset:224
	ds_store_b128 v4, v[0:3] offset:240
	;; [unrolled: 1-line block ×14, first 2 shown]
	ds_store_b128 v4, v[57:60]
	ds_store_b128 v4, v[61:64] offset:16
	global_wb scope:SCOPE_SE
	s_wait_dscnt 0x0
	s_barrier_signal -1
	s_barrier_wait -1
	global_inv scope:SCOPE_SE
	ds_load_b128 v[40:43], v90
	ds_load_b128 v[32:35], v90 offset:768
	ds_load_b128 v[68:71], v90 offset:8192
	;; [unrolled: 1-line block ×14, first 2 shown]
                                        ; implicit-def: $vgpr10_vgpr11
                                        ; implicit-def: $vgpr6_vgpr7
	s_and_saveexec_b32 s1, s0
	s_cbranch_execz .LBB0_21
; %bb.20:
	v_mad_i32_i24 v8, 0xffffff10, v86, v4
	ds_load_b128 v[0:3], v90 offset:3840
	ds_load_b128 v[4:7], v8 offset:7936
	;; [unrolled: 1-line block ×3, first 2 shown]
.LBB0_21:
	s_wait_alu 0xfffe
	s_or_b32 exec_lo, exec_lo, s1
	v_lshlrev_b32_e32 v12, 5, v86
	v_and_b32_e32 v137, 15, v86
	s_mov_b32 s4, 0xe8584caa
	s_mov_b32 s5, 0x3febb67a
	;; [unrolled: 1-line block ×3, first 2 shown]
	v_and_b32_e32 v87, 0x1e0, v12
	v_lshlrev_b32_e32 v36, 5, v137
	s_wait_alu 0xfffe
	s_mov_b32 s10, s4
	v_add_nc_u32_e32 v138, 0x90, v86
	v_or_b32_e32 v139, 0xc0, v86
	s_clause 0x3
	global_load_b128 v[12:15], v87, s[8:9]
	global_load_b128 v[24:27], v87, s[8:9] offset:16
	global_load_b64 v[91:92], v36, s[8:9]
	global_load_b128 v[36:39], v87, s[8:9] offset:8
	v_lshrrev_b32_e32 v140, 4, v86
	global_wb scope:SCOPE_SE
	s_wait_loadcnt_dscnt 0x0
	s_barrier_signal -1
	s_barrier_wait -1
	global_inv scope:SCOPE_SE
	v_mul_f64_e32 v[93:94], v[82:83], v[14:15]
	v_mul_f64_e32 v[95:96], v[80:81], v[14:15]
	;; [unrolled: 1-line block ×20, first 2 shown]
	v_fma_f64 v[80:81], v[80:81], v[91:92], -v[93:94]
	v_fma_f64 v[82:83], v[82:83], v[91:92], v[95:96]
	v_fma_f64 v[68:69], v[68:69], v[38:39], -v[99:100]
	v_fma_f64 v[70:71], v[70:71], v[38:39], v[103:104]
	;; [unrolled: 2-line block ×10, first 2 shown]
	v_add_f64_e32 v[105:106], v[40:41], v[80:81]
	v_add_f64_e32 v[107:108], v[42:43], v[82:83]
	;; [unrolled: 1-line block ×4, first 2 shown]
	v_add_f64_e64 v[82:83], v[82:83], -v[70:71]
	v_add_f64_e64 v[80:81], v[80:81], -v[68:69]
	v_add_f64_e32 v[50:51], v[72:73], v[60:61]
	v_add_f64_e32 v[91:92], v[74:75], v[62:63]
	;; [unrolled: 1-line block ×7, first 2 shown]
	v_add_f64_e64 v[74:75], v[74:75], -v[62:63]
	v_add_f64_e32 v[97:98], v[56:57], v[52:53]
	v_add_f64_e32 v[99:100], v[58:59], v[54:55]
	;; [unrolled: 1-line block ×6, first 2 shown]
	v_add_f64_e64 v[72:73], v[72:73], -v[60:61]
	v_add_f64_e32 v[119:120], v[18:19], v[58:59]
	v_add_f64_e32 v[113:114], v[28:29], v[64:65]
	;; [unrolled: 1-line block ×3, first 2 shown]
	v_add_f64_e64 v[66:67], v[66:67], -v[78:79]
	v_add_f64_e64 v[64:65], v[64:65], -v[76:77]
	;; [unrolled: 1-line block ×5, first 2 shown]
	v_add_f64_e32 v[14:15], v[105:106], v[68:69]
	v_fma_f64 v[125:126], v[26:27], -0.5, v[40:41]
	v_fma_f64 v[127:128], v[38:39], -0.5, v[42:43]
	v_fma_f64 v[129:130], v[50:51], -0.5, v[32:33]
	v_fma_f64 v[34:35], v[91:92], -0.5, v[34:35]
	v_fma_f64 v[91:92], v[93:94], -0.5, v[28:29]
	v_fma_f64 v[93:94], v[95:96], -0.5, v[30:31]
	v_add_f64_e64 v[95:96], v[58:59], -v[54:55]
	v_add_f64_e32 v[30:31], v[117:118], v[52:53]
	v_fma_f64 v[97:98], v[97:98], -0.5, v[16:17]
	v_fma_f64 v[99:100], v[99:100], -0.5, v[18:19]
	v_add_f64_e32 v[16:17], v[107:108], v[70:71]
	v_add_f64_e32 v[38:39], v[121:122], v[48:49]
	v_fma_f64 v[101:102], v[101:102], -0.5, v[20:21]
	v_fma_f64 v[22:23], v[103:104], -0.5, v[22:23]
	v_add_f64_e32 v[40:41], v[123:124], v[46:47]
	v_add_f64_e32 v[20:21], v[111:112], v[62:63]
	;; [unrolled: 1-line block ×6, first 2 shown]
	v_add_nc_u32_e32 v103, 48, v86
	v_add_nc_u32_e32 v104, 0x60, v86
	v_fma_f64 v[42:43], v[82:83], s[4:5], v[125:126]
	s_wait_alu 0xfffe
	v_fma_f64 v[44:45], v[80:81], s[10:11], v[127:128]
	v_fma_f64 v[46:47], v[82:83], s[10:11], v[125:126]
	;; [unrolled: 1-line block ×19, first 2 shown]
	v_lshrrev_b32_e32 v23, 4, v103
	v_mul_u32_u24_e32 v22, 48, v140
	v_lshrrev_b32_e32 v34, 4, v104
	v_lshrrev_b32_e32 v35, 4, v138
	;; [unrolled: 1-line block ×3, first 2 shown]
	v_mul_u32_u24_e32 v23, 48, v23
	v_or_b32_e32 v22, v22, v137
	v_mul_u32_u24_e32 v34, 48, v34
	v_mul_u32_u24_e32 v35, 48, v35
	;; [unrolled: 1-line block ×3, first 2 shown]
	v_or_b32_e32 v23, v23, v137
	v_lshl_add_u32 v22, v22, 4, 0
	v_or_b32_e32 v34, v34, v137
	v_or_b32_e32 v35, v35, v137
	;; [unrolled: 1-line block ×3, first 2 shown]
	v_lshl_add_u32 v23, v23, 4, 0
	s_delay_alu instid0(VALU_DEP_4) | instskip(NEXT) | instid1(VALU_DEP_4)
	v_lshl_add_u32 v34, v34, 4, 0
	v_lshl_add_u32 v35, v35, 4, 0
	s_delay_alu instid0(VALU_DEP_4)
	v_lshl_add_u32 v82, v82, 4, 0
	ds_store_b128 v22, v[14:17]
	ds_store_b128 v22, v[42:45] offset:256
	ds_store_b128 v22, v[46:49] offset:512
	ds_store_b128 v23, v[18:21]
	ds_store_b128 v23, v[50:53] offset:256
	ds_store_b128 v23, v[54:57] offset:512
	;; [unrolled: 3-line block ×5, first 2 shown]
	s_and_saveexec_b32 s1, s0
	s_cbranch_execz .LBB0_23
; %bb.22:
	v_add_co_u32 v14, s0, s8, v87
	s_wait_alu 0xf1ff
	v_add_co_ci_u32_e64 v15, null, s9, 0, s0
	v_mul_f64_e32 v[16:17], v[4:5], v[36:37]
	s_delay_alu instid0(VALU_DEP_3) | instskip(SKIP_1) | instid1(VALU_DEP_3)
	v_add_co_u32 v14, s0, v14, 16
	s_wait_alu 0xf1ff
	v_add_co_ci_u32_e64 v15, s0, 0, v15, s0
	v_mul_f64_e32 v[20:21], v[6:7], v[36:37]
	global_load_b64 v[14:15], v[14:15], off offset:8
	v_fma_f64 v[6:7], v[6:7], v[12:13], v[16:17]
	v_fma_f64 v[4:5], v[4:5], v[12:13], -v[20:21]
	s_delay_alu instid0(VALU_DEP_2) | instskip(SKIP_3) | instid1(VALU_DEP_2)
	v_add_f64_e32 v[16:17], v[2:3], v[6:7]
	s_wait_loadcnt 0x0
	v_mul_f64_e32 v[18:19], v[8:9], v[14:15]
	v_mul_f64_e32 v[14:15], v[10:11], v[14:15]
	v_fma_f64 v[10:11], v[10:11], v[24:25], v[18:19]
	s_delay_alu instid0(VALU_DEP_2) | instskip(SKIP_1) | instid1(VALU_DEP_3)
	v_fma_f64 v[8:9], v[8:9], v[24:25], -v[14:15]
	v_add_f64_e32 v[18:19], v[0:1], v[4:5]
	v_add_f64_e32 v[12:13], v[6:7], v[10:11]
	s_delay_alu instid0(VALU_DEP_3) | instskip(SKIP_2) | instid1(VALU_DEP_4)
	v_add_f64_e32 v[14:15], v[4:5], v[8:9]
	v_add_f64_e64 v[4:5], v[4:5], -v[8:9]
	v_add_f64_e64 v[20:21], v[6:7], -v[10:11]
	v_fma_f64 v[12:13], v[12:13], -0.5, v[2:3]
	s_delay_alu instid0(VALU_DEP_4) | instskip(SKIP_2) | instid1(VALU_DEP_4)
	v_fma_f64 v[14:15], v[14:15], -0.5, v[0:1]
	v_add_f64_e32 v[2:3], v[16:17], v[10:11]
	v_add_f64_e32 v[0:1], v[18:19], v[8:9]
	v_fma_f64 v[10:11], v[4:5], s[10:11], v[12:13]
	s_delay_alu instid0(VALU_DEP_4)
	v_fma_f64 v[8:9], v[20:21], s[4:5], v[14:15]
	v_fma_f64 v[6:7], v[4:5], s[4:5], v[12:13]
	;; [unrolled: 1-line block ×3, first 2 shown]
	ds_store_b128 v90, v[0:3] offset:11520
	ds_store_b128 v90, v[8:11] offset:11776
	;; [unrolled: 1-line block ×3, first 2 shown]
.LBB0_23:
	s_wait_alu 0xfffe
	s_or_b32 exec_lo, exec_lo, s1
	v_mul_u32_u24_e32 v0, 15, v86
	global_wb scope:SCOPE_SE
	s_wait_dscnt 0x0
	s_barrier_signal -1
	s_barrier_wait -1
	global_inv scope:SCOPE_SE
	v_lshlrev_b32_e32 v56, 4, v0
	s_mov_b32 s0, 0x667f3bcd
	s_mov_b32 s1, 0xbfe6a09e
	;; [unrolled: 1-line block ×3, first 2 shown]
	s_wait_alu 0xfffe
	s_mov_b32 s4, s0
	s_clause 0xe
	global_load_b128 v[0:3], v56, s[8:9] offset:512
	global_load_b128 v[4:7], v56, s[8:9] offset:528
	;; [unrolled: 1-line block ×15, first 2 shown]
	ds_load_b128 v[60:63], v90 offset:768
	ds_load_b128 v[64:67], v90 offset:1536
	ds_load_b128 v[68:71], v90 offset:2304
	ds_load_b128 v[72:75], v90 offset:3072
	ds_load_b128 v[76:79], v90 offset:3840
	ds_load_b128 v[80:83], v90
	ds_load_b128 v[91:94], v90 offset:4608
	ds_load_b128 v[95:98], v90 offset:5376
	;; [unrolled: 1-line block ×7, first 2 shown]
	s_mov_b32 s8, 0xcf328d46
	s_mov_b32 s9, 0xbfed906b
	;; [unrolled: 1-line block ×3, first 2 shown]
	s_wait_alu 0xfffe
	s_mov_b32 s14, s8
	s_mov_b32 s10, 0xa6aea964
	;; [unrolled: 1-line block ×4, first 2 shown]
	s_wait_alu 0xfffe
	s_mov_b32 s12, s10
	s_wait_loadcnt_dscnt 0xe0c
	v_mul_f64_e32 v[119:120], v[62:63], v[2:3]
	v_mul_f64_e32 v[2:3], v[60:61], v[2:3]
	s_wait_loadcnt_dscnt 0xd0b
	v_mul_f64_e32 v[121:122], v[66:67], v[6:7]
	v_mul_f64_e32 v[6:7], v[64:65], v[6:7]
	;; [unrolled: 3-line block ×6, first 2 shown]
	v_fma_f64 v[119:120], v[60:61], v[0:1], -v[119:120]
	v_fma_f64 v[131:132], v[62:63], v[0:1], v[2:3]
	ds_load_b128 v[0:3], v90 offset:8448
	ds_load_b128 v[60:63], v90 offset:10752
	v_fma_f64 v[64:65], v[64:65], v[4:5], -v[121:122]
	v_fma_f64 v[66:67], v[66:67], v[4:5], v[6:7]
	ds_load_b128 v[4:7], v90 offset:11520
	s_wait_loadcnt_dscnt 0x808
	v_mul_f64_e32 v[121:122], v[97:98], v[26:27]
	v_mul_f64_e32 v[26:27], v[95:96], v[26:27]
	v_fma_f64 v[68:69], v[68:69], v[8:9], -v[123:124]
	v_fma_f64 v[8:9], v[70:71], v[8:9], v[10:11]
	s_wait_loadcnt_dscnt 0x707
	v_mul_f64_e32 v[10:11], v[101:102], v[30:31]
	v_mul_f64_e32 v[30:31], v[99:100], v[30:31]
	s_wait_loadcnt_dscnt 0x606
	v_mul_f64_e32 v[70:71], v[105:106], v[34:35]
	v_mul_f64_e32 v[34:35], v[103:104], v[34:35]
	v_fma_f64 v[72:73], v[72:73], v[12:13], -v[125:126]
	v_fma_f64 v[12:13], v[74:75], v[12:13], v[14:15]
	s_wait_loadcnt_dscnt 0x505
	v_mul_f64_e32 v[14:15], v[109:110], v[38:39]
	v_mul_f64_e32 v[38:39], v[107:108], v[38:39]
	;; [unrolled: 8-line block ×3, first 2 shown]
	s_wait_loadcnt 0x2
	v_mul_f64_e32 v[78:79], v[113:114], v[50:51]
	v_mul_f64_e32 v[50:51], v[111:112], v[50:51]
	v_fma_f64 v[91:92], v[91:92], v[20:21], -v[129:130]
	v_fma_f64 v[20:21], v[93:94], v[20:21], v[22:23]
	s_wait_loadcnt 0x1
	v_mul_f64_e32 v[22:23], v[2:3], v[54:55]
	v_mul_f64_e32 v[54:55], v[0:1], v[54:55]
	s_wait_loadcnt_dscnt 0x0
	v_mul_f64_e32 v[93:94], v[4:5], v[58:59]
	v_mul_f64_e32 v[58:59], v[6:7], v[58:59]
	global_wb scope:SCOPE_SE
	s_barrier_signal -1
	s_barrier_wait -1
	global_inv scope:SCOPE_SE
	v_fma_f64 v[95:96], v[95:96], v[24:25], -v[121:122]
	v_fma_f64 v[24:25], v[97:98], v[24:25], v[26:27]
	v_fma_f64 v[10:11], v[99:100], v[28:29], -v[10:11]
	v_fma_f64 v[26:27], v[101:102], v[28:29], v[30:31]
	v_fma_f64 v[28:29], v[103:104], v[32:33], -v[70:71]
	v_fma_f64 v[30:31], v[105:106], v[32:33], v[34:35]
	v_fma_f64 v[14:15], v[107:108], v[36:37], -v[14:15]
	v_fma_f64 v[36:37], v[109:110], v[36:37], v[38:39]
	v_fma_f64 v[32:33], v[115:116], v[40:41], -v[74:75]
	v_fma_f64 v[34:35], v[117:118], v[40:41], v[42:43]
	v_fma_f64 v[18:19], v[60:61], v[44:45], -v[18:19]
	v_fma_f64 v[40:41], v[62:63], v[44:45], v[46:47]
	v_fma_f64 v[38:39], v[111:112], v[48:49], -v[78:79]
	v_fma_f64 v[42:43], v[113:114], v[48:49], v[50:51]
	v_fma_f64 v[0:1], v[0:1], v[52:53], -v[22:23]
	v_fma_f64 v[2:3], v[2:3], v[52:53], v[54:55]
	v_fma_f64 v[6:7], v[6:7], v[56:57], v[93:94]
	v_fma_f64 v[4:5], v[4:5], v[56:57], -v[58:59]
	v_add_f64_e64 v[10:11], v[80:81], -v[10:11]
	v_add_f64_e64 v[22:23], v[82:83], -v[26:27]
	;; [unrolled: 1-line block ×16, first 2 shown]
	v_fma_f64 v[58:59], v[80:81], 2.0, -v[10:11]
	v_fma_f64 v[60:61], v[82:83], 2.0, -v[22:23]
	v_add_f64_e32 v[44:45], v[22:23], v[26:27]
	v_add_f64_e64 v[42:43], v[10:11], -v[28:29]
	v_fma_f64 v[26:27], v[72:73], 2.0, -v[26:27]
	v_fma_f64 v[12:13], v[12:13], 2.0, -v[28:29]
	;; [unrolled: 1-line block ×5, first 2 shown]
	v_add_f64_e32 v[48:49], v[32:33], v[18:19]
	v_add_f64_e64 v[46:47], v[30:31], -v[34:35]
	v_add_f64_e32 v[52:53], v[36:37], v[38:39]
	v_add_f64_e64 v[50:51], v[14:15], -v[40:41]
	v_fma_f64 v[18:19], v[91:92], 2.0, -v[18:19]
	v_fma_f64 v[20:21], v[20:21], 2.0, -v[34:35]
	;; [unrolled: 1-line block ×4, first 2 shown]
	v_add_f64_e64 v[54:55], v[0:1], -v[6:7]
	v_add_f64_e32 v[56:57], v[2:3], v[4:5]
	v_fma_f64 v[16:17], v[16:17], 2.0, -v[40:41]
	v_fma_f64 v[40:41], v[68:69], 2.0, -v[0:1]
	;; [unrolled: 1-line block ×7, first 2 shown]
	v_add_f64_e64 v[26:27], v[58:59], -v[26:27]
	v_add_f64_e64 v[12:13], v[60:61], -v[12:13]
	v_fma_f64 v[66:67], v[48:49], s[4:5], v[44:45]
	v_fma_f64 v[24:25], v[30:31], 2.0, -v[46:47]
	v_fma_f64 v[30:31], v[32:33], 2.0, -v[48:49]
	v_fma_f64 v[14:15], v[14:15], 2.0, -v[50:51]
	v_fma_f64 v[32:33], v[36:37], 2.0, -v[52:53]
	v_add_f64_e64 v[18:19], v[28:29], -v[18:19]
	v_add_f64_e64 v[20:21], v[62:63], -v[20:21]
	;; [unrolled: 1-line block ×3, first 2 shown]
	v_fma_f64 v[0:1], v[0:1], 2.0, -v[54:55]
	v_fma_f64 v[2:3], v[2:3], 2.0, -v[56:57]
	v_add_f64_e64 v[16:17], v[64:65], -v[16:17]
	v_fma_f64 v[38:39], v[46:47], s[4:5], v[42:43]
	v_fma_f64 v[68:69], v[54:55], s[4:5], v[50:51]
	v_add_f64_e64 v[6:7], v[8:9], -v[6:7]
	v_add_f64_e64 v[4:5], v[40:41], -v[4:5]
	v_fma_f64 v[70:71], v[56:57], s[4:5], v[52:53]
	v_fma_f64 v[58:59], v[58:59], 2.0, -v[26:27]
	v_fma_f64 v[60:61], v[60:61], 2.0, -v[12:13]
	v_fma_f64 v[46:47], v[46:47], s[4:5], v[66:67]
	v_fma_f64 v[72:73], v[24:25], s[0:1], v[10:11]
	;; [unrolled: 1-line block ×3, first 2 shown]
	v_fma_f64 v[28:29], v[28:29], 2.0, -v[18:19]
	v_fma_f64 v[62:63], v[62:63], 2.0, -v[20:21]
	v_add_f64_e64 v[80:81], v[26:27], -v[20:21]
	v_fma_f64 v[76:77], v[0:1], s[0:1], v[14:15]
	v_fma_f64 v[78:79], v[2:3], s[0:1], v[32:33]
	v_add_f64_e32 v[82:83], v[12:13], v[18:19]
	v_fma_f64 v[38:39], v[48:49], s[0:1], v[38:39]
	v_fma_f64 v[48:49], v[56:57], s[0:1], v[68:69]
	v_add_f64_e64 v[18:19], v[36:37], -v[6:7]
	v_add_f64_e32 v[20:21], v[16:17], v[4:5]
	v_fma_f64 v[54:55], v[54:55], s[4:5], v[70:71]
	v_fma_f64 v[34:35], v[34:35], 2.0, -v[36:37]
	v_fma_f64 v[64:65], v[64:65], 2.0, -v[16:17]
	;; [unrolled: 1-line block ×4, first 2 shown]
	v_fma_f64 v[56:57], v[30:31], s[0:1], v[72:73]
	v_fma_f64 v[66:67], v[24:25], s[4:5], v[74:75]
	v_fma_f64 v[74:75], v[44:45], 2.0, -v[46:47]
	v_add_f64_e64 v[40:41], v[58:59], -v[28:29]
	v_add_f64_e64 v[62:63], v[60:61], -v[62:63]
	v_fma_f64 v[68:69], v[26:27], 2.0, -v[80:81]
	v_fma_f64 v[24:25], v[2:3], s[0:1], v[76:77]
	v_fma_f64 v[30:31], v[0:1], s[4:5], v[78:79]
	v_fma_f64 v[70:71], v[12:13], 2.0, -v[82:83]
	v_fma_f64 v[72:73], v[42:43], 2.0, -v[38:39]
	;; [unrolled: 1-line block ×6, first 2 shown]
	v_fma_f64 v[0:1], v[18:19], s[4:5], v[80:81]
	v_fma_f64 v[2:3], v[20:21], s[4:5], v[82:83]
	v_add_f64_e64 v[36:37], v[34:35], -v[4:5]
	v_add_f64_e64 v[8:9], v[64:65], -v[6:7]
	v_fma_f64 v[4:5], v[48:49], s[14:15], v[38:39]
	v_fma_f64 v[6:7], v[54:55], s[14:15], v[46:47]
	v_fma_f64 v[76:77], v[10:11], 2.0, -v[56:57]
	v_fma_f64 v[78:79], v[22:23], 2.0, -v[66:67]
	;; [unrolled: 1-line block ×6, first 2 shown]
	s_wait_alu 0xfffe
	v_fma_f64 v[52:53], v[24:25], s[12:13], v[56:57]
	v_fma_f64 v[91:92], v[30:31], s[12:13], v[66:67]
	;; [unrolled: 1-line block ×8, first 2 shown]
	v_fma_f64 v[34:35], v[34:35], 2.0, -v[36:37]
	v_fma_f64 v[64:65], v[64:65], 2.0, -v[8:9]
	v_fma_f64 v[4:5], v[54:55], s[10:11], v[4:5]
	v_fma_f64 v[6:7], v[48:49], s[12:13], v[6:7]
	v_add_f64_e64 v[8:9], v[40:41], -v[8:9]
	v_add_f64_e32 v[10:11], v[62:63], v[36:37]
	v_fma_f64 v[93:94], v[42:43], s[8:9], v[76:77]
	v_fma_f64 v[95:96], v[32:33], s[8:9], v[78:79]
	;; [unrolled: 1-line block ×8, first 2 shown]
	v_add_f64_e64 v[24:25], v[58:59], -v[34:35]
	v_add_f64_e64 v[26:27], v[60:61], -v[64:65]
	v_fma_f64 v[34:35], v[82:83], 2.0, -v[2:3]
	v_fma_f64 v[36:37], v[38:39], 2.0, -v[4:5]
	;; [unrolled: 1-line block ×4, first 2 shown]
	v_fma_f64 v[28:29], v[32:33], s[10:11], v[93:94]
	v_fma_f64 v[30:31], v[42:43], s[12:13], v[95:96]
	v_fma_f64 v[32:33], v[80:81], 2.0, -v[0:1]
	v_fma_f64 v[42:43], v[62:63], 2.0, -v[10:11]
	;; [unrolled: 1-line block ×12, first 2 shown]
	ds_store_b128 v90, v[0:3] offset:10752
	ds_store_b128 v90, v[4:7] offset:11520
	;; [unrolled: 1-line block ×14, first 2 shown]
	ds_store_b128 v90, v[56:59]
	ds_store_b128 v90, v[60:63] offset:768
	global_wb scope:SCOPE_SE
	s_wait_dscnt 0x0
	s_barrier_signal -1
	s_barrier_wait -1
	global_inv scope:SCOPE_SE
	s_and_saveexec_b32 s0, vcc_lo
	s_cbranch_execz .LBB0_25
; %bb.24:
	v_mul_lo_u32 v2, s3, v88
	v_mul_lo_u32 v3, s2, v89
	v_mad_co_u64_u32 v[0:1], null, s2, v88, 0
	v_lshl_add_u32 v34, v86, 4, 0
	v_dual_mov_b32 v87, 0 :: v_dual_add_nc_u32 v12, 48, v86
	v_lshlrev_b64_e32 v[8:9], 4, v[84:85]
	v_add_nc_u32_e32 v22, 0xf0, v86
	s_delay_alu instid0(VALU_DEP_3) | instskip(SKIP_4) | instid1(VALU_DEP_4)
	v_dual_mov_b32 v25, v87 :: v_dual_add_nc_u32 v24, 0x120, v86
	v_add3_u32 v1, v1, v3, v2
	v_mov_b32_e32 v13, v87
	v_lshlrev_b64_e32 v[14:15], 4, v[86:87]
	v_mov_b32_e32 v23, v87
	v_lshlrev_b64_e32 v[10:11], 4, v[0:1]
	ds_load_b128 v[0:3], v34
	ds_load_b128 v[4:7], v34 offset:768
	v_lshlrev_b64_e32 v[22:23], 4, v[22:23]
	v_add_co_u32 v10, vcc_lo, s6, v10
	s_wait_alu 0xfffd
	v_add_co_ci_u32_e32 v11, vcc_lo, s7, v11, vcc_lo
	s_delay_alu instid0(VALU_DEP_2) | instskip(SKIP_1) | instid1(VALU_DEP_2)
	v_add_co_u32 v36, vcc_lo, v10, v8
	s_wait_alu 0xfffd
	v_add_co_ci_u32_e32 v37, vcc_lo, v11, v9, vcc_lo
	v_lshlrev_b64_e32 v[8:9], 4, v[12:13]
	v_add_nc_u32_e32 v12, 0x60, v86
	v_add_co_u32 v10, vcc_lo, v36, v14
	s_wait_alu 0xfffd
	v_add_co_ci_u32_e32 v11, vcc_lo, v37, v15, vcc_lo
	s_delay_alu instid0(VALU_DEP_4)
	v_add_co_u32 v8, vcc_lo, v36, v8
	s_wait_alu 0xfffd
	v_add_co_ci_u32_e32 v9, vcc_lo, v37, v9, vcc_lo
	s_wait_dscnt 0x1
	global_store_b128 v[10:11], v[0:3], off
	s_wait_dscnt 0x0
	global_store_b128 v[8:9], v[4:7], off
	v_lshlrev_b64_e32 v[0:1], 4, v[12:13]
	v_dual_mov_b32 v9, v87 :: v_dual_add_nc_u32 v8, 0x90, v86
	v_dual_mov_b32 v11, v87 :: v_dual_add_nc_u32 v10, 0xc0, v86
	s_delay_alu instid0(VALU_DEP_3) | instskip(SKIP_1) | instid1(VALU_DEP_4)
	v_add_co_u32 v16, vcc_lo, v36, v0
	s_wait_alu 0xfffd
	v_add_co_ci_u32_e32 v17, vcc_lo, v37, v1, vcc_lo
	ds_load_b128 v[0:3], v34 offset:1536
	ds_load_b128 v[4:7], v34 offset:2304
	v_lshlrev_b64_e32 v[18:19], 4, v[8:9]
	v_lshlrev_b64_e32 v[20:21], 4, v[10:11]
	ds_load_b128 v[8:11], v34 offset:3072
	ds_load_b128 v[12:15], v34 offset:3840
	v_add_co_u32 v18, vcc_lo, v36, v18
	s_wait_alu 0xfffd
	v_add_co_ci_u32_e32 v19, vcc_lo, v37, v19, vcc_lo
	v_add_co_u32 v20, vcc_lo, v36, v20
	s_wait_alu 0xfffd
	v_add_co_ci_u32_e32 v21, vcc_lo, v37, v21, vcc_lo
	;; [unrolled: 3-line block ×3, first 2 shown]
	s_wait_dscnt 0x3
	global_store_b128 v[16:17], v[0:3], off
	s_wait_dscnt 0x2
	global_store_b128 v[18:19], v[4:7], off
	;; [unrolled: 2-line block ×4, first 2 shown]
	v_lshlrev_b64_e32 v[0:1], 4, v[24:25]
	v_dual_mov_b32 v9, v87 :: v_dual_add_nc_u32 v8, 0x150, v86
	v_dual_mov_b32 v11, v87 :: v_dual_add_nc_u32 v10, 0x180, v86
	;; [unrolled: 1-line block ×3, first 2 shown]
	s_delay_alu instid0(VALU_DEP_4)
	v_add_co_u32 v16, vcc_lo, v36, v0
	s_wait_alu 0xfffd
	v_add_co_ci_u32_e32 v17, vcc_lo, v37, v1, vcc_lo
	ds_load_b128 v[0:3], v34 offset:4608
	ds_load_b128 v[4:7], v34 offset:5376
	v_lshlrev_b64_e32 v[18:19], 4, v[8:9]
	v_lshlrev_b64_e32 v[20:21], 4, v[10:11]
	ds_load_b128 v[8:11], v34 offset:6144
	ds_load_b128 v[12:15], v34 offset:6912
	v_lshlrev_b64_e32 v[22:23], 4, v[22:23]
	v_add_nc_u32_e32 v24, 0x1e0, v86
	v_add_co_u32 v18, vcc_lo, v36, v18
	s_wait_alu 0xfffd
	v_add_co_ci_u32_e32 v19, vcc_lo, v37, v19, vcc_lo
	v_add_co_u32 v20, vcc_lo, v36, v20
	s_wait_alu 0xfffd
	v_add_co_ci_u32_e32 v21, vcc_lo, v37, v21, vcc_lo
	v_add_co_u32 v22, vcc_lo, v36, v22
	s_wait_dscnt 0x3
	global_store_b128 v[16:17], v[0:3], off
	s_wait_dscnt 0x2
	global_store_b128 v[18:19], v[4:7], off
	v_dual_mov_b32 v3, v87 :: v_dual_add_nc_u32 v2, 0x210, v86
	s_wait_alu 0xfffd
	v_add_co_ci_u32_e32 v23, vcc_lo, v37, v23, vcc_lo
	v_lshlrev_b64_e32 v[0:1], 4, v[24:25]
	s_wait_dscnt 0x1
	global_store_b128 v[20:21], v[8:11], off
	s_wait_dscnt 0x0
	global_store_b128 v[22:23], v[12:15], off
	v_mov_b32_e32 v11, v87
	v_lshlrev_b64_e32 v[8:9], 4, v[2:3]
	v_dual_mov_b32 v17, v87 :: v_dual_add_nc_u32 v10, 0x240, v86
	v_add_co_u32 v24, vcc_lo, v36, v0
	s_wait_alu 0xfffd
	v_add_co_ci_u32_e32 v25, vcc_lo, v37, v1, vcc_lo
	s_delay_alu instid0(VALU_DEP_4)
	v_add_co_u32 v26, vcc_lo, v36, v8
	s_wait_alu 0xfffd
	v_add_co_ci_u32_e32 v27, vcc_lo, v37, v9, vcc_lo
	v_lshlrev_b64_e32 v[8:9], 4, v[10:11]
	v_dual_mov_b32 v19, v87 :: v_dual_add_nc_u32 v16, 0x270, v86
	v_add_nc_u32_e32 v18, 0x2a0, v86
	ds_load_b128 v[0:3], v34 offset:7680
	ds_load_b128 v[4:7], v34 offset:8448
	v_add_nc_u32_e32 v86, 0x2d0, v86
	v_add_co_u32 v28, vcc_lo, v36, v8
	s_wait_alu 0xfffd
	v_add_co_ci_u32_e32 v29, vcc_lo, v37, v9, vcc_lo
	ds_load_b128 v[8:11], v34 offset:9216
	ds_load_b128 v[12:15], v34 offset:9984
	v_lshlrev_b64_e32 v[30:31], 4, v[16:17]
	v_lshlrev_b64_e32 v[32:33], 4, v[18:19]
	ds_load_b128 v[16:19], v34 offset:10752
	ds_load_b128 v[20:23], v34 offset:11520
	v_lshlrev_b64_e32 v[34:35], 4, v[86:87]
	v_add_co_u32 v30, vcc_lo, v36, v30
	s_wait_alu 0xfffd
	v_add_co_ci_u32_e32 v31, vcc_lo, v37, v31, vcc_lo
	v_add_co_u32 v32, vcc_lo, v36, v32
	s_wait_alu 0xfffd
	v_add_co_ci_u32_e32 v33, vcc_lo, v37, v33, vcc_lo
	;; [unrolled: 3-line block ×3, first 2 shown]
	s_wait_dscnt 0x5
	global_store_b128 v[24:25], v[0:3], off
	s_wait_dscnt 0x4
	global_store_b128 v[26:27], v[4:7], off
	;; [unrolled: 2-line block ×6, first 2 shown]
.LBB0_25:
	s_nop 0
	s_sendmsg sendmsg(MSG_DEALLOC_VGPRS)
	s_endpgm
	.section	.rodata,"a",@progbits
	.p2align	6, 0x0
	.amdhsa_kernel fft_rtc_fwd_len768_factors_16_3_16_wgs_48_tpt_48_halfLds_dp_op_CI_CI_unitstride_sbrr_C2R_dirReg
		.amdhsa_group_segment_fixed_size 0
		.amdhsa_private_segment_fixed_size 0
		.amdhsa_kernarg_size 104
		.amdhsa_user_sgpr_count 2
		.amdhsa_user_sgpr_dispatch_ptr 0
		.amdhsa_user_sgpr_queue_ptr 0
		.amdhsa_user_sgpr_kernarg_segment_ptr 1
		.amdhsa_user_sgpr_dispatch_id 0
		.amdhsa_user_sgpr_private_segment_size 0
		.amdhsa_wavefront_size32 1
		.amdhsa_uses_dynamic_stack 0
		.amdhsa_enable_private_segment 0
		.amdhsa_system_sgpr_workgroup_id_x 1
		.amdhsa_system_sgpr_workgroup_id_y 0
		.amdhsa_system_sgpr_workgroup_id_z 0
		.amdhsa_system_sgpr_workgroup_info 0
		.amdhsa_system_vgpr_workitem_id 0
		.amdhsa_next_free_vgpr 141
		.amdhsa_next_free_sgpr 39
		.amdhsa_reserve_vcc 1
		.amdhsa_float_round_mode_32 0
		.amdhsa_float_round_mode_16_64 0
		.amdhsa_float_denorm_mode_32 3
		.amdhsa_float_denorm_mode_16_64 3
		.amdhsa_fp16_overflow 0
		.amdhsa_workgroup_processor_mode 1
		.amdhsa_memory_ordered 1
		.amdhsa_forward_progress 0
		.amdhsa_round_robin_scheduling 0
		.amdhsa_exception_fp_ieee_invalid_op 0
		.amdhsa_exception_fp_denorm_src 0
		.amdhsa_exception_fp_ieee_div_zero 0
		.amdhsa_exception_fp_ieee_overflow 0
		.amdhsa_exception_fp_ieee_underflow 0
		.amdhsa_exception_fp_ieee_inexact 0
		.amdhsa_exception_int_div_zero 0
	.end_amdhsa_kernel
	.text
.Lfunc_end0:
	.size	fft_rtc_fwd_len768_factors_16_3_16_wgs_48_tpt_48_halfLds_dp_op_CI_CI_unitstride_sbrr_C2R_dirReg, .Lfunc_end0-fft_rtc_fwd_len768_factors_16_3_16_wgs_48_tpt_48_halfLds_dp_op_CI_CI_unitstride_sbrr_C2R_dirReg
                                        ; -- End function
	.section	.AMDGPU.csdata,"",@progbits
; Kernel info:
; codeLenInByte = 9792
; NumSgprs: 41
; NumVgprs: 141
; ScratchSize: 0
; MemoryBound: 0
; FloatMode: 240
; IeeeMode: 1
; LDSByteSize: 0 bytes/workgroup (compile time only)
; SGPRBlocks: 5
; VGPRBlocks: 17
; NumSGPRsForWavesPerEU: 41
; NumVGPRsForWavesPerEU: 141
; Occupancy: 10
; WaveLimiterHint : 1
; COMPUTE_PGM_RSRC2:SCRATCH_EN: 0
; COMPUTE_PGM_RSRC2:USER_SGPR: 2
; COMPUTE_PGM_RSRC2:TRAP_HANDLER: 0
; COMPUTE_PGM_RSRC2:TGID_X_EN: 1
; COMPUTE_PGM_RSRC2:TGID_Y_EN: 0
; COMPUTE_PGM_RSRC2:TGID_Z_EN: 0
; COMPUTE_PGM_RSRC2:TIDIG_COMP_CNT: 0
	.text
	.p2alignl 7, 3214868480
	.fill 96, 4, 3214868480
	.type	__hip_cuid_42859f2a233c4bf1,@object ; @__hip_cuid_42859f2a233c4bf1
	.section	.bss,"aw",@nobits
	.globl	__hip_cuid_42859f2a233c4bf1
__hip_cuid_42859f2a233c4bf1:
	.byte	0                               ; 0x0
	.size	__hip_cuid_42859f2a233c4bf1, 1

	.ident	"AMD clang version 19.0.0git (https://github.com/RadeonOpenCompute/llvm-project roc-6.4.0 25133 c7fe45cf4b819c5991fe208aaa96edf142730f1d)"
	.section	".note.GNU-stack","",@progbits
	.addrsig
	.addrsig_sym __hip_cuid_42859f2a233c4bf1
	.amdgpu_metadata
---
amdhsa.kernels:
  - .args:
      - .actual_access:  read_only
        .address_space:  global
        .offset:         0
        .size:           8
        .value_kind:     global_buffer
      - .offset:         8
        .size:           8
        .value_kind:     by_value
      - .actual_access:  read_only
        .address_space:  global
        .offset:         16
        .size:           8
        .value_kind:     global_buffer
      - .actual_access:  read_only
        .address_space:  global
        .offset:         24
        .size:           8
        .value_kind:     global_buffer
      - .actual_access:  read_only
        .address_space:  global
        .offset:         32
        .size:           8
        .value_kind:     global_buffer
      - .offset:         40
        .size:           8
        .value_kind:     by_value
      - .actual_access:  read_only
        .address_space:  global
        .offset:         48
        .size:           8
        .value_kind:     global_buffer
      - .actual_access:  read_only
        .address_space:  global
        .offset:         56
        .size:           8
        .value_kind:     global_buffer
      - .offset:         64
        .size:           4
        .value_kind:     by_value
      - .actual_access:  read_only
        .address_space:  global
        .offset:         72
        .size:           8
        .value_kind:     global_buffer
      - .actual_access:  read_only
        .address_space:  global
        .offset:         80
        .size:           8
        .value_kind:     global_buffer
      - .actual_access:  read_only
        .address_space:  global
        .offset:         88
        .size:           8
        .value_kind:     global_buffer
      - .actual_access:  write_only
        .address_space:  global
        .offset:         96
        .size:           8
        .value_kind:     global_buffer
    .group_segment_fixed_size: 0
    .kernarg_segment_align: 8
    .kernarg_segment_size: 104
    .language:       OpenCL C
    .language_version:
      - 2
      - 0
    .max_flat_workgroup_size: 48
    .name:           fft_rtc_fwd_len768_factors_16_3_16_wgs_48_tpt_48_halfLds_dp_op_CI_CI_unitstride_sbrr_C2R_dirReg
    .private_segment_fixed_size: 0
    .sgpr_count:     41
    .sgpr_spill_count: 0
    .symbol:         fft_rtc_fwd_len768_factors_16_3_16_wgs_48_tpt_48_halfLds_dp_op_CI_CI_unitstride_sbrr_C2R_dirReg.kd
    .uniform_work_group_size: 1
    .uses_dynamic_stack: false
    .vgpr_count:     141
    .vgpr_spill_count: 0
    .wavefront_size: 32
    .workgroup_processor_mode: 1
amdhsa.target:   amdgcn-amd-amdhsa--gfx1201
amdhsa.version:
  - 1
  - 2
...

	.end_amdgpu_metadata
